;; amdgpu-corpus repo=ROCm/rocFFT kind=compiled arch=gfx906 opt=O3
	.text
	.amdgcn_target "amdgcn-amd-amdhsa--gfx906"
	.amdhsa_code_object_version 6
	.protected	fft_rtc_back_len2916_factors_6_6_3_3_3_3_wgs_243_tpt_243_halfLds_sp_ip_CI_unitstride_sbrr_R2C_dirReg ; -- Begin function fft_rtc_back_len2916_factors_6_6_3_3_3_3_wgs_243_tpt_243_halfLds_sp_ip_CI_unitstride_sbrr_R2C_dirReg
	.globl	fft_rtc_back_len2916_factors_6_6_3_3_3_3_wgs_243_tpt_243_halfLds_sp_ip_CI_unitstride_sbrr_R2C_dirReg
	.p2align	8
	.type	fft_rtc_back_len2916_factors_6_6_3_3_3_3_wgs_243_tpt_243_halfLds_sp_ip_CI_unitstride_sbrr_R2C_dirReg,@function
fft_rtc_back_len2916_factors_6_6_3_3_3_3_wgs_243_tpt_243_halfLds_sp_ip_CI_unitstride_sbrr_R2C_dirReg: ; @fft_rtc_back_len2916_factors_6_6_3_3_3_3_wgs_243_tpt_243_halfLds_sp_ip_CI_unitstride_sbrr_R2C_dirReg
; %bb.0:
	s_load_dwordx2 s[2:3], s[4:5], 0x50
	s_load_dwordx4 s[8:11], s[4:5], 0x0
	s_load_dwordx2 s[12:13], s[4:5], 0x18
	v_mul_u32_u24_e32 v1, 0x10e, v0
	v_add_u32_sdwa v5, s6, v1 dst_sel:DWORD dst_unused:UNUSED_PAD src0_sel:DWORD src1_sel:WORD_1
	v_mov_b32_e32 v3, 0
	s_waitcnt lgkmcnt(0)
	v_cmp_lt_u64_e64 s[0:1], s[10:11], 2
	v_mov_b32_e32 v1, 0
	v_mov_b32_e32 v6, v3
	s_and_b64 vcc, exec, s[0:1]
	v_mov_b32_e32 v2, 0
	s_cbranch_vccnz .LBB0_8
; %bb.1:
	s_load_dwordx2 s[0:1], s[4:5], 0x10
	s_add_u32 s6, s12, 8
	s_addc_u32 s7, s13, 0
	v_mov_b32_e32 v1, 0
	v_mov_b32_e32 v2, 0
	s_waitcnt lgkmcnt(0)
	s_add_u32 s14, s0, 8
	s_addc_u32 s15, s1, 0
	s_mov_b64 s[16:17], 1
.LBB0_2:                                ; =>This Inner Loop Header: Depth=1
	s_load_dwordx2 s[18:19], s[14:15], 0x0
                                        ; implicit-def: $vgpr7_vgpr8
	s_waitcnt lgkmcnt(0)
	v_or_b32_e32 v4, s19, v6
	v_cmp_ne_u64_e32 vcc, 0, v[3:4]
	s_and_saveexec_b64 s[0:1], vcc
	s_xor_b64 s[20:21], exec, s[0:1]
	s_cbranch_execz .LBB0_4
; %bb.3:                                ;   in Loop: Header=BB0_2 Depth=1
	v_cvt_f32_u32_e32 v4, s18
	v_cvt_f32_u32_e32 v7, s19
	s_sub_u32 s0, 0, s18
	s_subb_u32 s1, 0, s19
	v_mac_f32_e32 v4, 0x4f800000, v7
	v_rcp_f32_e32 v4, v4
	v_mul_f32_e32 v4, 0x5f7ffffc, v4
	v_mul_f32_e32 v7, 0x2f800000, v4
	v_trunc_f32_e32 v7, v7
	v_mac_f32_e32 v4, 0xcf800000, v7
	v_cvt_u32_f32_e32 v7, v7
	v_cvt_u32_f32_e32 v4, v4
	v_mul_lo_u32 v8, s0, v7
	v_mul_hi_u32 v9, s0, v4
	v_mul_lo_u32 v11, s1, v4
	v_mul_lo_u32 v10, s0, v4
	v_add_u32_e32 v8, v9, v8
	v_add_u32_e32 v8, v8, v11
	v_mul_hi_u32 v9, v4, v10
	v_mul_lo_u32 v11, v4, v8
	v_mul_hi_u32 v13, v4, v8
	v_mul_hi_u32 v12, v7, v10
	v_mul_lo_u32 v10, v7, v10
	v_mul_hi_u32 v14, v7, v8
	v_add_co_u32_e32 v9, vcc, v9, v11
	v_addc_co_u32_e32 v11, vcc, 0, v13, vcc
	v_mul_lo_u32 v8, v7, v8
	v_add_co_u32_e32 v9, vcc, v9, v10
	v_addc_co_u32_e32 v9, vcc, v11, v12, vcc
	v_addc_co_u32_e32 v10, vcc, 0, v14, vcc
	v_add_co_u32_e32 v8, vcc, v9, v8
	v_addc_co_u32_e32 v9, vcc, 0, v10, vcc
	v_add_co_u32_e32 v4, vcc, v4, v8
	v_addc_co_u32_e32 v7, vcc, v7, v9, vcc
	v_mul_lo_u32 v8, s0, v7
	v_mul_hi_u32 v9, s0, v4
	v_mul_lo_u32 v10, s1, v4
	v_mul_lo_u32 v11, s0, v4
	v_add_u32_e32 v8, v9, v8
	v_add_u32_e32 v8, v8, v10
	v_mul_lo_u32 v12, v4, v8
	v_mul_hi_u32 v13, v4, v11
	v_mul_hi_u32 v14, v4, v8
	;; [unrolled: 1-line block ×3, first 2 shown]
	v_mul_lo_u32 v11, v7, v11
	v_mul_hi_u32 v9, v7, v8
	v_add_co_u32_e32 v12, vcc, v13, v12
	v_addc_co_u32_e32 v13, vcc, 0, v14, vcc
	v_mul_lo_u32 v8, v7, v8
	v_add_co_u32_e32 v11, vcc, v12, v11
	v_addc_co_u32_e32 v10, vcc, v13, v10, vcc
	v_addc_co_u32_e32 v9, vcc, 0, v9, vcc
	v_add_co_u32_e32 v8, vcc, v10, v8
	v_addc_co_u32_e32 v9, vcc, 0, v9, vcc
	v_add_co_u32_e32 v4, vcc, v4, v8
	v_addc_co_u32_e32 v9, vcc, v7, v9, vcc
	v_mad_u64_u32 v[7:8], s[0:1], v5, v9, 0
	v_mul_hi_u32 v10, v5, v4
	v_add_co_u32_e32 v11, vcc, v10, v7
	v_addc_co_u32_e32 v12, vcc, 0, v8, vcc
	v_mad_u64_u32 v[7:8], s[0:1], v6, v4, 0
	v_mad_u64_u32 v[9:10], s[0:1], v6, v9, 0
	v_add_co_u32_e32 v4, vcc, v11, v7
	v_addc_co_u32_e32 v4, vcc, v12, v8, vcc
	v_addc_co_u32_e32 v7, vcc, 0, v10, vcc
	v_add_co_u32_e32 v4, vcc, v4, v9
	v_addc_co_u32_e32 v9, vcc, 0, v7, vcc
	v_mul_lo_u32 v10, s19, v4
	v_mul_lo_u32 v11, s18, v9
	v_mad_u64_u32 v[7:8], s[0:1], s18, v4, 0
	v_add3_u32 v8, v8, v11, v10
	v_sub_u32_e32 v10, v6, v8
	v_mov_b32_e32 v11, s19
	v_sub_co_u32_e32 v7, vcc, v5, v7
	v_subb_co_u32_e64 v10, s[0:1], v10, v11, vcc
	v_subrev_co_u32_e64 v11, s[0:1], s18, v7
	v_subbrev_co_u32_e64 v10, s[0:1], 0, v10, s[0:1]
	v_cmp_le_u32_e64 s[0:1], s19, v10
	v_cndmask_b32_e64 v12, 0, -1, s[0:1]
	v_cmp_le_u32_e64 s[0:1], s18, v11
	v_cndmask_b32_e64 v11, 0, -1, s[0:1]
	v_cmp_eq_u32_e64 s[0:1], s19, v10
	v_cndmask_b32_e64 v10, v12, v11, s[0:1]
	v_add_co_u32_e64 v11, s[0:1], 2, v4
	v_addc_co_u32_e64 v12, s[0:1], 0, v9, s[0:1]
	v_add_co_u32_e64 v13, s[0:1], 1, v4
	v_addc_co_u32_e64 v14, s[0:1], 0, v9, s[0:1]
	v_subb_co_u32_e32 v8, vcc, v6, v8, vcc
	v_cmp_ne_u32_e64 s[0:1], 0, v10
	v_cmp_le_u32_e32 vcc, s19, v8
	v_cndmask_b32_e64 v10, v14, v12, s[0:1]
	v_cndmask_b32_e64 v12, 0, -1, vcc
	v_cmp_le_u32_e32 vcc, s18, v7
	v_cndmask_b32_e64 v7, 0, -1, vcc
	v_cmp_eq_u32_e32 vcc, s19, v8
	v_cndmask_b32_e32 v7, v12, v7, vcc
	v_cmp_ne_u32_e32 vcc, 0, v7
	v_cndmask_b32_e64 v7, v13, v11, s[0:1]
	v_cndmask_b32_e32 v8, v9, v10, vcc
	v_cndmask_b32_e32 v7, v4, v7, vcc
.LBB0_4:                                ;   in Loop: Header=BB0_2 Depth=1
	s_andn2_saveexec_b64 s[0:1], s[20:21]
	s_cbranch_execz .LBB0_6
; %bb.5:                                ;   in Loop: Header=BB0_2 Depth=1
	v_cvt_f32_u32_e32 v4, s18
	s_sub_i32 s20, 0, s18
	v_rcp_iflag_f32_e32 v4, v4
	v_mul_f32_e32 v4, 0x4f7ffffe, v4
	v_cvt_u32_f32_e32 v4, v4
	v_mul_lo_u32 v7, s20, v4
	v_mul_hi_u32 v7, v4, v7
	v_add_u32_e32 v4, v4, v7
	v_mul_hi_u32 v4, v5, v4
	v_mul_lo_u32 v7, v4, s18
	v_add_u32_e32 v8, 1, v4
	v_sub_u32_e32 v7, v5, v7
	v_subrev_u32_e32 v9, s18, v7
	v_cmp_le_u32_e32 vcc, s18, v7
	v_cndmask_b32_e32 v7, v7, v9, vcc
	v_cndmask_b32_e32 v4, v4, v8, vcc
	v_add_u32_e32 v8, 1, v4
	v_cmp_le_u32_e32 vcc, s18, v7
	v_cndmask_b32_e32 v7, v4, v8, vcc
	v_mov_b32_e32 v8, v3
.LBB0_6:                                ;   in Loop: Header=BB0_2 Depth=1
	s_or_b64 exec, exec, s[0:1]
	v_mul_lo_u32 v4, v8, s18
	v_mul_lo_u32 v11, v7, s19
	v_mad_u64_u32 v[9:10], s[0:1], v7, s18, 0
	s_load_dwordx2 s[0:1], s[6:7], 0x0
	s_add_u32 s16, s16, 1
	v_add3_u32 v4, v10, v11, v4
	v_sub_co_u32_e32 v5, vcc, v5, v9
	v_subb_co_u32_e32 v4, vcc, v6, v4, vcc
	s_waitcnt lgkmcnt(0)
	v_mul_lo_u32 v4, s0, v4
	v_mul_lo_u32 v6, s1, v5
	v_mad_u64_u32 v[1:2], s[0:1], s0, v5, v[1:2]
	s_addc_u32 s17, s17, 0
	s_add_u32 s6, s6, 8
	v_add3_u32 v2, v6, v2, v4
	v_mov_b32_e32 v4, s10
	v_mov_b32_e32 v5, s11
	s_addc_u32 s7, s7, 0
	v_cmp_ge_u64_e32 vcc, s[16:17], v[4:5]
	s_add_u32 s14, s14, 8
	s_addc_u32 s15, s15, 0
	s_cbranch_vccnz .LBB0_9
; %bb.7:                                ;   in Loop: Header=BB0_2 Depth=1
	v_mov_b32_e32 v5, v7
	v_mov_b32_e32 v6, v8
	s_branch .LBB0_2
.LBB0_8:
	v_mov_b32_e32 v8, v6
	v_mov_b32_e32 v7, v5
.LBB0_9:
	s_lshl_b64 s[0:1], s[10:11], 3
	s_add_u32 s0, s12, s0
	s_addc_u32 s1, s13, s1
	s_load_dwordx2 s[6:7], s[0:1], 0x0
	s_load_dwordx2 s[10:11], s[4:5], 0x20
                                        ; implicit-def: $vgpr6
	s_waitcnt lgkmcnt(0)
	v_mad_u64_u32 v[1:2], s[0:1], s6, v7, v[1:2]
	s_mov_b32 s0, 0x10db20b
	v_mul_lo_u32 v3, s6, v8
	v_mul_lo_u32 v4, s7, v7
	v_mul_hi_u32 v5, v0, s0
	v_cmp_gt_u64_e64 s[0:1], s[10:11], v[7:8]
	v_cmp_le_u64_e32 vcc, s[10:11], v[7:8]
	v_add3_u32 v2, v4, v2, v3
	v_mul_u32_u24_e32 v3, 0xf3, v5
	v_sub_u32_e32 v0, v0, v3
                                        ; implicit-def: $vgpr4
                                        ; implicit-def: $vgpr7
	s_and_saveexec_b64 s[4:5], vcc
	s_xor_b64 s[4:5], exec, s[4:5]
; %bb.10:
	v_add_u32_e32 v4, 0xf3, v0
	v_add_u32_e32 v7, 0x1e6, v0
	;; [unrolled: 1-line block ×3, first 2 shown]
; %bb.11:
	s_or_saveexec_b64 s[4:5], s[4:5]
	v_lshlrev_b64 v[2:3], 3, v[1:2]
	s_xor_b64 exec, exec, s[4:5]
	s_cbranch_execz .LBB0_13
; %bb.12:
	v_mov_b32_e32 v1, 0
	v_mov_b32_e32 v4, s3
	v_add_co_u32_e32 v6, vcc, s2, v2
	v_addc_co_u32_e32 v7, vcc, v4, v3, vcc
	v_lshlrev_b64 v[4:5], 3, v[0:1]
	s_movk_i32 s6, 0x1000
	v_add_co_u32_e32 v4, vcc, v6, v4
	v_addc_co_u32_e32 v5, vcc, v7, v5, vcc
	v_add_co_u32_e32 v6, vcc, s6, v4
	v_addc_co_u32_e32 v7, vcc, 0, v5, vcc
	s_movk_i32 s6, 0x2000
	v_add_co_u32_e32 v16, vcc, s6, v4
	v_addc_co_u32_e32 v17, vcc, 0, v5, vcc
	s_movk_i32 s6, 0x3000
	v_add_co_u32_e32 v18, vcc, s6, v4
	v_addc_co_u32_e32 v19, vcc, 0, v5, vcc
	v_add_co_u32_e32 v20, vcc, 0x4000, v4
	v_addc_co_u32_e32 v21, vcc, 0, v5, vcc
	global_load_dwordx2 v[8:9], v[4:5], off
	global_load_dwordx2 v[10:11], v[4:5], off offset:1944
	global_load_dwordx2 v[12:13], v[4:5], off offset:3888
	global_load_dwordx2 v[14:15], v[6:7], off offset:1736
	v_add_co_u32_e32 v4, vcc, 0x5000, v4
	v_addc_co_u32_e32 v5, vcc, 0, v5, vcc
	global_load_dwordx2 v[22:23], v[6:7], off offset:3680
	global_load_dwordx2 v[24:25], v[16:17], off offset:1528
	;; [unrolled: 1-line block ×8, first 2 shown]
	v_lshl_add_u32 v1, v0, 3, 0
	v_add_u32_e32 v4, 0xf3, v0
	v_add_u32_e32 v7, 0x1e6, v0
	;; [unrolled: 1-line block ×7, first 2 shown]
	s_waitcnt vmcnt(10)
	ds_write2_b64 v1, v[8:9], v[10:11] offset1:243
	s_waitcnt vmcnt(8)
	ds_write2_b64 v5, v[12:13], v[14:15] offset0:6 offset1:249
	s_waitcnt vmcnt(6)
	ds_write2_b64 v16, v[22:23], v[24:25] offset0:12 offset1:255
	;; [unrolled: 2-line block ×4, first 2 shown]
	v_add_u32_e32 v1, 0x4bc0, v1
	s_waitcnt vmcnt(0)
	ds_write2_b64 v1, v[34:35], v[36:37] offset0:6 offset1:249
.LBB0_13:
	s_or_b64 exec, exec, s[4:5]
	v_lshlrev_b32_e32 v1, 3, v0
	v_add_u32_e32 v14, 0, v1
	v_add_u32_e32 v5, 0x2d80, v14
	;; [unrolled: 1-line block ×3, first 2 shown]
	s_waitcnt lgkmcnt(0)
	s_barrier
	ds_read2_b64 v[15:18], v5 offset0:2 offset1:245
	ds_read2_b64 v[19:22], v10 offset0:6 offset1:249
	v_add_u32_e32 v8, 0xf00, v14
	ds_read2_b64 v[23:26], v8 offset0:6 offset1:249
	v_add_u32_e32 v11, 0x1e00, v14
	v_add_u32_e32 v12, 0x3c80, v14
	s_waitcnt lgkmcnt(1)
	v_add_f32_e32 v9, v16, v20
	v_add_f32_e32 v8, v15, v19
	s_waitcnt lgkmcnt(0)
	v_fma_f32 v40, -0.5, v9, v24
	ds_read2_b64 v[27:30], v14 offset1:243
	ds_read2_b64 v[31:34], v11 offset0:12 offset1:255
	ds_read2_b64 v[35:38], v12 offset0:8 offset1:251
	v_fma_f32 v13, -0.5, v8, v23
	v_sub_f32_e32 v41, v15, v19
	v_mov_b32_e32 v9, v40
	v_sub_f32_e32 v39, v16, v20
	v_mov_b32_e32 v8, v13
	v_fmac_f32_e32 v9, 0x3f5db3d7, v41
	v_fmac_f32_e32 v8, 0xbf5db3d7, v39
	v_mul_f32_e32 v42, 0xbf5db3d7, v9
	v_mul_f32_e32 v43, 0.5, v9
	v_fmac_f32_e32 v42, 0.5, v8
	v_fmac_f32_e32 v43, 0x3f5db3d7, v8
	s_waitcnt lgkmcnt(1)
	v_add_f32_e32 v8, v27, v31
	s_waitcnt lgkmcnt(0)
	v_add_f32_e32 v44, v8, v35
	v_add_f32_e32 v8, v31, v35
	v_fma_f32 v27, -0.5, v8, v27
	v_add_f32_e32 v8, v28, v32
	v_add_f32_e32 v47, v8, v36
	;; [unrolled: 1-line block ×3, first 2 shown]
	v_fma_f32 v28, -0.5, v8, v28
	v_add_f32_e32 v8, v23, v15
	v_sub_f32_e32 v45, v32, v36
	v_mov_b32_e32 v46, v27
	v_sub_f32_e32 v31, v31, v35
	v_mov_b32_e32 v32, v28
	v_add_f32_e32 v19, v8, v19
	v_add_f32_e32 v8, v24, v16
	v_fmac_f32_e32 v46, 0xbf5db3d7, v45
	v_fmac_f32_e32 v32, 0x3f5db3d7, v31
	v_add_f32_e32 v20, v8, v20
	v_add_f32_e32 v8, v44, v19
	;; [unrolled: 1-line block ×5, first 2 shown]
	v_mad_u32_u24 v23, v0, 40, v14
	v_fmac_f32_e32 v40, 0xbf5db3d7, v41
	s_barrier
	ds_write2_b64 v23, v[8:9], v[15:16] offset1:1
	v_sub_f32_e32 v8, v44, v19
	v_sub_f32_e32 v9, v47, v20
	v_fmac_f32_e32 v13, 0x3f5db3d7, v39
	v_mul_f32_e32 v19, 0xbf5db3d7, v40
	v_mul_f32_e32 v20, -0.5, v40
	v_fmac_f32_e32 v27, 0x3f5db3d7, v45
	v_fmac_f32_e32 v28, 0xbf5db3d7, v31
	v_fmac_f32_e32 v19, -0.5, v13
	v_fmac_f32_e32 v20, 0x3f5db3d7, v13
	v_add_f32_e32 v15, v27, v19
	v_add_f32_e32 v16, v28, v20
	ds_write2_b64 v23, v[15:16], v[8:9] offset0:2 offset1:3
	v_sub_f32_e32 v8, v46, v42
	v_sub_f32_e32 v9, v32, v43
	;; [unrolled: 1-line block ×4, first 2 shown]
	ds_write2_b64 v23, v[8:9], v[15:16] offset0:4 offset1:5
	v_add_f32_e32 v15, v30, v34
	v_sub_f32_e32 v24, v18, v22
	v_add_f32_e32 v27, v26, v18
	v_add_f32_e32 v18, v18, v22
	;; [unrolled: 1-line block ×5, first 2 shown]
	v_fmac_f32_e32 v26, -0.5, v18
	v_add_f32_e32 v9, v33, v37
	v_add_f32_e32 v16, v34, v38
	;; [unrolled: 1-line block ×4, first 2 shown]
	v_sub_f32_e32 v28, v17, v21
	v_fma_f32 v18, -0.5, v15, v25
	v_mov_b32_e32 v15, v26
	v_add_f32_e32 v21, v8, v21
	v_fmac_f32_e32 v30, -0.5, v16
	v_mov_b32_e32 v8, v18
	v_fmac_f32_e32 v15, 0x3f5db3d7, v28
	v_fma_f32 v29, -0.5, v9, v29
	v_sub_f32_e32 v13, v34, v38
	v_sub_f32_e32 v19, v33, v37
	v_add_f32_e32 v22, v27, v22
	v_fmac_f32_e32 v8, 0xbf5db3d7, v24
	v_mul_f32_e32 v25, 0xbf5db3d7, v15
	v_mul_f32_e32 v27, 0.5, v15
	v_mov_b32_e32 v31, v29
	v_mov_b32_e32 v32, v30
	v_fmac_f32_e32 v26, 0xbf5db3d7, v28
	v_fmac_f32_e32 v25, 0.5, v8
	v_fmac_f32_e32 v27, 0x3f5db3d7, v8
	v_fmac_f32_e32 v31, 0xbf5db3d7, v13
	;; [unrolled: 1-line block ×3, first 2 shown]
	v_mul_i32_i24_e32 v15, 6, v4
	v_mul_f32_e32 v28, 0xbf5db3d7, v26
	v_mul_f32_e32 v26, -0.5, v26
	v_fmac_f32_e32 v18, 0x3f5db3d7, v24
	v_add_f32_e32 v8, v20, v21
	v_add_f32_e32 v9, v23, v22
	v_add_f32_e32 v16, v31, v25
	v_add_f32_e32 v17, v32, v27
	v_lshl_add_u32 v15, v15, 3, 0
	v_fmac_f32_e32 v29, 0x3f5db3d7, v13
	v_fmac_f32_e32 v30, 0xbf5db3d7, v19
	v_fmac_f32_e32 v28, -0.5, v18
	v_fmac_f32_e32 v26, 0x3f5db3d7, v18
	ds_write2_b64 v15, v[8:9], v[16:17] offset1:1
	v_sub_f32_e32 v8, v20, v21
	v_sub_f32_e32 v9, v23, v22
	v_add_f32_e32 v16, v29, v28
	v_add_f32_e32 v17, v30, v26
	ds_write2_b64 v15, v[16:17], v[8:9] offset0:2 offset1:3
	v_sub_f32_e32 v9, v30, v26
	v_sub_f32_e32 v8, v29, v28
	;; [unrolled: 1-line block ×4, first 2 shown]
	s_movk_i32 s4, 0xab
	ds_write2_b64 v15, v[16:17], v[8:9] offset0:4 offset1:5
	v_mul_lo_u16_sdwa v8, v0, s4 dst_sel:DWORD dst_unused:UNUSED_PAD src0_sel:BYTE_0 src1_sel:DWORD
	v_lshrrev_b16_e32 v45, 10, v8
	v_mul_lo_u16_e32 v8, 6, v45
	v_sub_u16_e32 v46, v0, v8
	v_mov_b32_e32 v8, 5
	v_mul_u32_u24_sdwa v8, v46, v8 dst_sel:DWORD dst_unused:UNUSED_PAD src0_sel:BYTE_0 src1_sel:DWORD
	v_lshlrev_b32_e32 v13, 3, v8
	s_waitcnt lgkmcnt(0)
	s_barrier
	global_load_dwordx4 v[17:20], v13, s[8:9]
	s_mov_b32 s4, 0xaaab
	v_mul_u32_u24_sdwa v8, v4, s4 dst_sel:DWORD dst_unused:UNUSED_PAD src0_sel:WORD_0 src1_sel:DWORD
	v_lshrrev_b32_e32 v47, 18, v8
	v_mul_lo_u16_e32 v8, 6, v47
	v_sub_u16_e32 v48, v4, v8
	v_mul_u32_u24_e32 v8, 5, v48
	v_lshlrev_b32_e32 v49, 3, v8
	global_load_dwordx4 v[21:24], v49, s[8:9]
	global_load_dwordx4 v[25:28], v13, s[8:9] offset:16
	global_load_dwordx4 v[29:32], v49, s[8:9] offset:16
	global_load_dwordx2 v[8:9], v13, s[8:9] offset:32
	v_add_u32_e32 v13, 0x1680, v14
	v_lshl_add_u32 v16, v7, 3, 0
	ds_read2_b64 v[33:36], v13 offset0:9 offset1:252
	ds_read_b64 v[37:38], v14
	ds_read_b64 v[39:40], v16
	s_movk_i32 s4, 0xffd8
	v_mad_i32_i24 v13, v4, s4, v15
	ds_read_b64 v[41:42], v13
	ds_read_b64 v[43:44], v14 offset:21384
	s_mov_b32 s4, 0xe38f
	s_add_u32 s6, s8, 0x5af0
	s_addc_u32 s7, s9, 0
	s_waitcnt vmcnt(4) lgkmcnt(2)
	v_mul_f32_e32 v50, v18, v40
	v_mul_f32_e32 v18, v18, v39
	v_fmac_f32_e32 v50, v17, v39
	v_fma_f32 v39, v17, v40, -v18
	v_mul_f32_e32 v40, v20, v36
	v_mul_f32_e32 v17, v20, v35
	v_fmac_f32_e32 v40, v19, v35
	v_fma_f32 v35, v19, v36, -v17
	v_add_u32_e32 v17, 0x25c0, v14
	ds_read2_b64 v[17:20], v17 offset0:7 offset1:250
	s_waitcnt vmcnt(3)
	v_mul_f32_e32 v36, v34, v22
	v_mul_f32_e32 v22, v33, v22
	v_fmac_f32_e32 v36, v33, v21
	v_fma_f32 v33, v34, v21, -v22
	s_waitcnt lgkmcnt(0)
	v_mul_f32_e32 v34, v18, v24
	v_fmac_f32_e32 v34, v17, v23
	v_mul_f32_e32 v17, v17, v24
	v_fma_f32 v51, v18, v23, -v17
	v_add_u32_e32 v17, 0x3500, v14
	ds_read2_b64 v[21:24], v17 offset0:5 offset1:248
	s_waitcnt vmcnt(2)
	v_mul_f32_e32 v52, v26, v20
	v_mul_f32_e32 v17, v26, v19
	v_fmac_f32_e32 v52, v25, v19
	v_fma_f32 v53, v25, v20, -v17
	global_load_dwordx2 v[25:26], v49, s[8:9] offset:32
	s_waitcnt lgkmcnt(0)
	v_mul_f32_e32 v54, v28, v24
	v_mul_f32_e32 v17, v28, v23
	v_fmac_f32_e32 v54, v27, v23
	v_fma_f32 v23, v27, v24, -v17
	v_add_u32_e32 v17, 0x4400, v14
	ds_read2_b64 v[17:20], v17 offset0:11 offset1:254
	s_waitcnt vmcnt(2)
	v_mul_f32_e32 v24, v22, v30
	v_fmac_f32_e32 v24, v21, v29
	v_mul_f32_e32 v21, v21, v30
	v_fma_f32 v21, v22, v29, -v21
	s_waitcnt lgkmcnt(0)
	v_mul_f32_e32 v22, v18, v32
	v_fmac_f32_e32 v22, v17, v31
	v_mul_f32_e32 v17, v17, v32
	v_fma_f32 v27, v18, v31, -v17
	s_waitcnt vmcnt(1)
	v_mul_f32_e32 v17, v9, v20
	v_fmac_f32_e32 v17, v8, v19
	v_mul_f32_e32 v9, v9, v19
	v_fma_f32 v8, v8, v20, -v9
	v_add_f32_e32 v20, v52, v17
	v_add_f32_e32 v19, v50, v52
	v_fmac_f32_e32 v50, -0.5, v20
	v_add_f32_e32 v20, v39, v53
	v_add_f32_e32 v30, v20, v8
	v_sub_f32_e32 v31, v53, v8
	v_add_f32_e32 v8, v53, v8
	v_fmac_f32_e32 v39, -0.5, v8
	v_add_f32_e32 v9, v38, v35
	v_sub_f32_e32 v28, v35, v23
	v_add_f32_e32 v18, v35, v23
	v_add_f32_e32 v32, v19, v17
	v_sub_f32_e32 v35, v52, v17
	v_mov_b32_e32 v17, v39
	v_fmac_f32_e32 v38, -0.5, v18
	v_add_f32_e32 v18, v37, v40
	v_mov_b32_e32 v8, v50
	v_fmac_f32_e32 v17, 0x3f5db3d7, v35
	v_add_f32_e32 v9, v9, v23
	v_add_f32_e32 v23, v18, v54
	;; [unrolled: 1-line block ×3, first 2 shown]
	v_sub_f32_e32 v29, v40, v54
	v_fmac_f32_e32 v8, 0xbf5db3d7, v31
	v_mul_f32_e32 v40, 0xbf5db3d7, v17
	v_mul_f32_e32 v49, 0.5, v17
	v_fmac_f32_e32 v40, 0.5, v8
	v_fmac_f32_e32 v49, 0x3f5db3d7, v8
	v_mov_b32_e32 v8, 3
	v_fma_f32 v37, -0.5, v18, v37
	v_lshlrev_b32_sdwa v19, v8, v46 dst_sel:DWORD dst_unused:UNUSED_PAD src0_sel:DWORD src1_sel:BYTE_0
	v_mov_b32_e32 v46, v37
	v_mov_b32_e32 v52, v38
	v_mul_u32_u24_e32 v17, 0x120, v45
	v_fmac_f32_e32 v46, 0xbf5db3d7, v28
	v_fmac_f32_e32 v52, 0x3f5db3d7, v29
	v_add3_u32 v45, 0, v17, v19
	v_add_f32_e32 v17, v23, v32
	v_add_f32_e32 v18, v9, v30
	;; [unrolled: 1-line block ×4, first 2 shown]
	v_fmac_f32_e32 v39, 0xbf5db3d7, v35
	s_waitcnt vmcnt(0)
	s_barrier
	ds_write2_b64 v45, v[17:18], v[19:20] offset1:6
	v_sub_f32_e32 v17, v23, v32
	v_sub_f32_e32 v18, v9, v30
	v_fmac_f32_e32 v50, 0x3f5db3d7, v31
	v_mul_f32_e32 v9, 0xbf5db3d7, v39
	v_mul_f32_e32 v23, -0.5, v39
	v_fmac_f32_e32 v37, 0x3f5db3d7, v28
	v_fmac_f32_e32 v38, 0xbf5db3d7, v29
	v_fmac_f32_e32 v9, -0.5, v50
	v_fmac_f32_e32 v23, 0x3f5db3d7, v50
	v_add_f32_e32 v19, v37, v9
	v_add_f32_e32 v20, v38, v23
	ds_write2_b64 v45, v[19:20], v[17:18] offset0:12 offset1:18
	v_sub_f32_e32 v17, v37, v9
	v_sub_f32_e32 v18, v38, v23
	;; [unrolled: 1-line block ×4, first 2 shown]
	v_mul_f32_e32 v9, v44, v26
	v_fmac_f32_e32 v9, v43, v25
	ds_write2_b64 v45, v[19:20], v[17:18] offset0:24 offset1:30
	v_mul_f32_e32 v17, v43, v26
	v_add_f32_e32 v20, v24, v9
	v_fma_f32 v17, v44, v25, -v17
	v_add_f32_e32 v18, v42, v51
	v_add_f32_e32 v19, v36, v24
	v_fmac_f32_e32 v36, -0.5, v20
	v_add_f32_e32 v20, v33, v21
	v_add_f32_e32 v23, v18, v27
	v_sub_f32_e32 v25, v51, v27
	v_add_f32_e32 v18, v51, v27
	v_add_f32_e32 v27, v20, v17
	v_sub_f32_e32 v28, v21, v17
	v_add_f32_e32 v17, v21, v17
	v_fmac_f32_e32 v42, -0.5, v18
	v_add_f32_e32 v18, v41, v34
	v_fmac_f32_e32 v33, -0.5, v17
	v_add_f32_e32 v26, v18, v22
	v_add_f32_e32 v18, v34, v22
	;; [unrolled: 1-line block ×3, first 2 shown]
	v_sub_f32_e32 v9, v24, v9
	v_mov_b32_e32 v19, v33
	v_mov_b32_e32 v17, v36
	v_fmac_f32_e32 v19, 0x3f5db3d7, v9
	v_fma_f32 v31, -0.5, v18, v41
	v_sub_f32_e32 v22, v34, v22
	v_fmac_f32_e32 v17, 0xbf5db3d7, v28
	v_mul_f32_e32 v24, 0xbf5db3d7, v19
	v_mul_f32_e32 v29, 0.5, v19
	v_mov_b32_e32 v32, v31
	v_mov_b32_e32 v34, v42
	v_fmac_f32_e32 v24, 0.5, v17
	v_fmac_f32_e32 v29, 0x3f5db3d7, v17
	v_mul_u32_u24_e32 v17, 0x120, v47
	v_lshlrev_b32_e32 v19, 3, v48
	v_fmac_f32_e32 v32, 0xbf5db3d7, v25
	v_fmac_f32_e32 v34, 0x3f5db3d7, v22
	v_add3_u32 v30, 0, v17, v19
	v_add_f32_e32 v17, v26, v21
	v_add_f32_e32 v18, v23, v27
	;; [unrolled: 1-line block ×4, first 2 shown]
	v_fmac_f32_e32 v33, 0xbf5db3d7, v9
	ds_write2_b64 v30, v[17:18], v[19:20] offset1:6
	v_sub_f32_e32 v17, v26, v21
	v_fmac_f32_e32 v36, 0x3f5db3d7, v28
	v_mul_f32_e32 v9, 0xbf5db3d7, v33
	v_mul_f32_e32 v21, -0.5, v33
	v_fmac_f32_e32 v31, 0x3f5db3d7, v25
	v_fmac_f32_e32 v42, 0xbf5db3d7, v22
	v_fmac_f32_e32 v9, -0.5, v36
	v_fmac_f32_e32 v21, 0x3f5db3d7, v36
	v_sub_f32_e32 v18, v23, v27
	v_add_f32_e32 v19, v31, v9
	v_add_f32_e32 v20, v42, v21
	ds_write2_b64 v30, v[19:20], v[17:18] offset0:12 offset1:18
	v_sub_f32_e32 v17, v31, v9
	v_mov_b32_e32 v9, 57
	v_mul_lo_u16_sdwa v9, v0, v9 dst_sel:DWORD dst_unused:UNUSED_PAD src0_sel:BYTE_0 src1_sel:DWORD
	v_sub_f32_e32 v18, v42, v21
	v_sub_f32_e32 v19, v32, v24
	;; [unrolled: 1-line block ×3, first 2 shown]
	v_lshrrev_b16_e32 v9, 11, v9
	ds_write2_b64 v30, v[19:20], v[17:18] offset0:24 offset1:30
	v_mul_lo_u16_e32 v17, 36, v9
	v_mul_u32_u24_sdwa v21, v4, s4 dst_sel:DWORD dst_unused:UNUSED_PAD src0_sel:WORD_0 src1_sel:DWORD
	v_sub_u16_e32 v41, v0, v17
	v_mov_b32_e32 v42, 4
	v_lshrrev_b32_e32 v43, 21, v21
	v_lshlrev_b32_sdwa v17, v42, v41 dst_sel:DWORD dst_unused:UNUSED_PAD src0_sel:DWORD src1_sel:BYTE_0
	v_mul_lo_u16_e32 v21, 36, v43
	s_waitcnt lgkmcnt(0)
	s_barrier
	global_load_dwordx4 v[17:20], v17, s[8:9] offset:240
	v_sub_u16_e32 v44, v4, v21
	v_lshlrev_b32_e32 v21, 4, v44
	global_load_dwordx4 v[21:24], v21, s[8:9] offset:240
	v_mul_u32_u24_sdwa v25, v7, s4 dst_sel:DWORD dst_unused:UNUSED_PAD src0_sel:WORD_0 src1_sel:DWORD
	v_lshrrev_b32_e32 v45, 21, v25
	v_mul_lo_u16_e32 v25, 36, v45
	v_mul_u32_u24_sdwa v29, v6, s4 dst_sel:DWORD dst_unused:UNUSED_PAD src0_sel:WORD_0 src1_sel:DWORD
	v_sub_u16_e32 v46, v7, v25
	v_lshrrev_b32_e32 v47, 21, v29
	v_lshlrev_b32_e32 v25, 4, v46
	v_mul_lo_u16_e32 v29, 36, v47
	global_load_dwordx4 v[25:28], v25, s[8:9] offset:240
	v_sub_u16_e32 v48, v6, v29
	v_lshlrev_b32_e32 v29, 4, v48
	global_load_dwordx4 v[29:32], v29, s[8:9] offset:240
	ds_read2_b64 v[33:36], v11 offset0:12 offset1:255
	ds_read2_b64 v[37:40], v12 offset0:8 offset1:251
	v_mul_u32_u24_e32 v9, 0x360, v9
	s_movk_i32 s4, 0x51
	s_waitcnt vmcnt(3) lgkmcnt(1)
	v_mul_f32_e32 v49, v18, v34
	v_mul_f32_e32 v18, v18, v33
	v_fmac_f32_e32 v49, v17, v33
	v_fma_f32 v33, v17, v34, -v18
	s_waitcnt lgkmcnt(0)
	v_mul_f32_e32 v34, v20, v38
	v_mul_f32_e32 v17, v20, v37
	v_fmac_f32_e32 v34, v19, v37
	v_fma_f32 v37, v19, v38, -v17
	s_waitcnt vmcnt(2)
	v_mul_f32_e32 v38, v22, v36
	v_mul_f32_e32 v17, v22, v35
	v_fmac_f32_e32 v38, v21, v35
	v_fma_f32 v35, v21, v36, -v17
	ds_read2_b64 v[17:20], v5 offset0:2 offset1:245
	v_mul_f32_e32 v36, v24, v40
	v_mul_f32_e32 v21, v24, v39
	v_fmac_f32_e32 v36, v23, v39
	v_fma_f32 v39, v23, v40, -v21
	ds_read2_b64 v[21:24], v10 offset0:6 offset1:249
	s_waitcnt vmcnt(1) lgkmcnt(1)
	v_mul_f32_e32 v40, v26, v18
	v_fmac_f32_e32 v40, v25, v17
	v_mul_f32_e32 v17, v26, v17
	v_fma_f32 v50, v25, v18, -v17
	s_waitcnt lgkmcnt(0)
	v_mul_f32_e32 v17, v21, v28
	s_waitcnt vmcnt(0)
	v_mul_f32_e32 v53, v20, v30
	v_fma_f32 v52, v22, v27, -v17
	v_fmac_f32_e32 v53, v19, v29
	v_mul_f32_e32 v17, v19, v30
	ds_read_b64 v[18:19], v14
	v_mul_f32_e32 v51, v22, v28
	v_fma_f32 v30, v20, v29, -v17
	v_mul_f32_e32 v54, v24, v32
	v_mul_f32_e32 v17, v23, v32
	v_fmac_f32_e32 v51, v21, v27
	v_fmac_f32_e32 v54, v23, v31
	v_fma_f32 v31, v24, v31, -v17
	v_lshl_add_u32 v17, v6, 3, 0
	ds_read_b64 v[20:21], v16
	ds_read_b64 v[22:23], v17
	;; [unrolled: 1-line block ×3, first 2 shown]
	v_add_f32_e32 v27, v49, v34
	v_add_f32_e32 v28, v33, v37
	s_waitcnt lgkmcnt(3)
	v_add_f32_e32 v26, v18, v49
	v_fma_f32 v18, -0.5, v27, v18
	v_add_f32_e32 v27, v19, v33
	v_fmac_f32_e32 v19, -0.5, v28
	v_lshlrev_b32_sdwa v28, v8, v41 dst_sel:DWORD dst_unused:UNUSED_PAD src0_sel:DWORD src1_sel:BYTE_0
	v_sub_f32_e32 v32, v33, v37
	v_sub_f32_e32 v33, v49, v34
	v_add3_u32 v9, 0, v9, v28
	v_mov_b32_e32 v28, v18
	v_mov_b32_e32 v29, v19
	v_add_f32_e32 v26, v26, v34
	v_add_f32_e32 v27, v27, v37
	v_fmac_f32_e32 v28, 0xbf5db3d7, v32
	v_fmac_f32_e32 v29, 0x3f5db3d7, v33
	;; [unrolled: 1-line block ×4, first 2 shown]
	s_waitcnt lgkmcnt(0)
	s_barrier
	ds_write2_b64 v9, v[26:27], v[28:29] offset1:36
	ds_write_b64 v9, v[18:19] offset:576
	v_add_f32_e32 v9, v24, v38
	v_add_f32_e32 v18, v38, v36
	;; [unrolled: 1-line block ×3, first 2 shown]
	v_fma_f32 v24, -0.5, v18, v24
	v_add_f32_e32 v18, v9, v36
	v_add_f32_e32 v9, v25, v35
	v_fmac_f32_e32 v25, -0.5, v26
	v_mul_u32_u24_e32 v26, 0x360, v43
	v_lshlrev_b32_e32 v27, 3, v44
	v_add_f32_e32 v19, v9, v39
	v_sub_f32_e32 v9, v35, v39
	v_sub_f32_e32 v28, v38, v36
	v_add3_u32 v29, 0, v26, v27
	v_mov_b32_e32 v26, v24
	v_mov_b32_e32 v27, v25
	v_fmac_f32_e32 v26, 0xbf5db3d7, v9
	v_fmac_f32_e32 v27, 0x3f5db3d7, v28
	;; [unrolled: 1-line block ×4, first 2 shown]
	ds_write2_b64 v29, v[18:19], v[26:27] offset1:36
	ds_write_b64 v29, v[24:25] offset:576
	v_add_f32_e32 v9, v20, v40
	v_add_f32_e32 v18, v40, v51
	;; [unrolled: 1-line block ×3, first 2 shown]
	v_fma_f32 v20, -0.5, v18, v20
	v_add_f32_e32 v18, v9, v51
	v_add_f32_e32 v9, v21, v50
	v_fmac_f32_e32 v21, -0.5, v24
	v_mul_u32_u24_e32 v24, 0x360, v45
	v_lshlrev_b32_e32 v25, 3, v46
	v_add_f32_e32 v19, v9, v52
	v_sub_f32_e32 v9, v50, v52
	v_sub_f32_e32 v26, v40, v51
	v_add3_u32 v27, 0, v24, v25
	v_mov_b32_e32 v24, v20
	v_mov_b32_e32 v25, v21
	v_fmac_f32_e32 v24, 0xbf5db3d7, v9
	v_fmac_f32_e32 v25, 0x3f5db3d7, v26
	v_fmac_f32_e32 v20, 0x3f5db3d7, v9
	v_fmac_f32_e32 v21, 0xbf5db3d7, v26
	ds_write2_b64 v27, v[18:19], v[24:25] offset1:36
	ds_write_b64 v27, v[20:21] offset:576
	v_add_f32_e32 v9, v22, v53
	v_add_f32_e32 v18, v53, v54
	;; [unrolled: 1-line block ×3, first 2 shown]
	v_fma_f32 v22, -0.5, v18, v22
	v_add_f32_e32 v18, v9, v54
	v_add_f32_e32 v9, v23, v30
	v_fmac_f32_e32 v23, -0.5, v20
	v_mul_u32_u24_e32 v20, 0x360, v47
	v_lshlrev_b32_e32 v21, 3, v48
	v_add_f32_e32 v19, v9, v31
	v_sub_f32_e32 v9, v30, v31
	v_add3_u32 v25, 0, v20, v21
	v_mov_b32_e32 v20, v22
	v_fmac_f32_e32 v20, 0xbf5db3d7, v9
	v_fmac_f32_e32 v22, 0x3f5db3d7, v9
	v_mov_b32_e32 v9, 19
	v_sub_f32_e32 v24, v53, v54
	v_mov_b32_e32 v21, v23
	v_mul_lo_u16_sdwa v9, v0, v9 dst_sel:DWORD dst_unused:UNUSED_PAD src0_sel:BYTE_0 src1_sel:DWORD
	v_fmac_f32_e32 v21, 0x3f5db3d7, v24
	v_fmac_f32_e32 v23, 0xbf5db3d7, v24
	v_lshrrev_b16_e32 v9, 11, v9
	ds_write2_b64 v25, v[18:19], v[20:21] offset1:36
	ds_write_b64 v25, v[22:23] offset:576
	v_mul_lo_u16_e32 v18, 0x6c, v9
	v_lshrrev_b16_e32 v22, 2, v4
	v_sub_u16_e32 v43, v0, v18
	v_mul_u32_u24_e32 v22, 0x4bdb, v22
	v_lshlrev_b32_sdwa v18, v42, v43 dst_sel:DWORD dst_unused:UNUSED_PAD src0_sel:DWORD src1_sel:BYTE_0
	v_lshrrev_b32_e32 v42, 19, v22
	v_mul_lo_u16_e32 v22, 0x6c, v42
	s_waitcnt lgkmcnt(0)
	s_barrier
	global_load_dwordx4 v[18:21], v18, s[8:9] offset:816
	v_sub_u16_e32 v44, v4, v22
	v_lshlrev_b32_e32 v22, 4, v44
	global_load_dwordx4 v[22:25], v22, s[8:9] offset:816
	v_lshrrev_b16_e32 v26, 2, v7
	v_mul_u32_u24_e32 v26, 0x4bdb, v26
	v_lshrrev_b32_e32 v45, 19, v26
	v_mul_lo_u16_e32 v26, 0x6c, v45
	v_lshrrev_b16_e32 v30, 2, v6
	v_sub_u16_e32 v46, v7, v26
	v_mul_u32_u24_e32 v30, 0x4bdb, v30
	v_lshlrev_b32_e32 v26, 4, v46
	v_lshrrev_b32_e32 v47, 19, v30
	global_load_dwordx4 v[26:29], v26, s[8:9] offset:816
	v_mul_lo_u16_e32 v30, 0x6c, v47
	v_sub_u16_e32 v48, v6, v30
	v_lshlrev_b32_e32 v30, 4, v48
	global_load_dwordx4 v[30:33], v30, s[8:9] offset:816
	ds_read2_b64 v[34:37], v11 offset0:12 offset1:255
	ds_read2_b64 v[38:41], v12 offset0:8 offset1:251
	v_lshlrev_b32_sdwa v8, v8, v43 dst_sel:DWORD dst_unused:UNUSED_PAD src0_sel:DWORD src1_sel:BYTE_0
	v_mul_u32_u24_e32 v9, 0xa20, v9
	s_waitcnt vmcnt(3) lgkmcnt(1)
	v_mul_f32_e32 v49, v19, v35
	v_mul_f32_e32 v19, v19, v34
	v_fmac_f32_e32 v49, v18, v34
	v_fma_f32 v34, v18, v35, -v19
	s_waitcnt lgkmcnt(0)
	v_mul_f32_e32 v35, v21, v39
	v_mul_f32_e32 v18, v21, v38
	v_fmac_f32_e32 v35, v20, v38
	v_fma_f32 v38, v20, v39, -v18
	s_waitcnt vmcnt(2)
	v_mul_f32_e32 v39, v23, v37
	v_mul_f32_e32 v18, v23, v36
	v_fmac_f32_e32 v39, v22, v36
	v_fma_f32 v36, v22, v37, -v18
	ds_read2_b64 v[18:21], v5 offset0:2 offset1:245
	v_mul_f32_e32 v37, v25, v41
	v_mul_f32_e32 v22, v25, v40
	v_fmac_f32_e32 v37, v24, v40
	v_fma_f32 v40, v24, v41, -v22
	ds_read2_b64 v[22:25], v10 offset0:6 offset1:249
	s_waitcnt vmcnt(1) lgkmcnt(1)
	v_mul_f32_e32 v41, v27, v19
	v_fmac_f32_e32 v41, v26, v18
	v_mul_f32_e32 v18, v27, v18
	v_fma_f32 v50, v26, v19, -v18
	s_waitcnt lgkmcnt(0)
	v_mul_f32_e32 v51, v23, v29
	v_mul_f32_e32 v18, v22, v29
	v_fmac_f32_e32 v51, v22, v28
	v_fma_f32 v28, v23, v28, -v18
	s_waitcnt vmcnt(0)
	v_mul_f32_e32 v29, v21, v31
	v_mul_f32_e32 v18, v20, v31
	v_fmac_f32_e32 v29, v20, v30
	v_fma_f32 v30, v21, v30, -v18
	ds_read_b64 v[18:19], v14
	v_mul_f32_e32 v31, v25, v33
	v_mul_f32_e32 v20, v24, v33
	v_add_f32_e32 v27, v49, v35
	v_fmac_f32_e32 v31, v24, v32
	v_fma_f32 v32, v25, v32, -v20
	ds_read_b64 v[20:21], v16
	ds_read_b64 v[22:23], v17
	ds_read_b64 v[24:25], v13
	s_waitcnt lgkmcnt(3)
	v_add_f32_e32 v26, v18, v49
	v_fma_f32 v18, -0.5, v27, v18
	v_add_f32_e32 v27, v19, v34
	v_sub_f32_e32 v33, v34, v38
	v_add_f32_e32 v34, v34, v38
	v_fmac_f32_e32 v19, -0.5, v34
	v_add_f32_e32 v26, v26, v35
	v_sub_f32_e32 v34, v49, v35
	v_add3_u32 v35, 0, v9, v8
	v_mov_b32_e32 v8, v18
	v_mov_b32_e32 v9, v19
	v_add_f32_e32 v27, v27, v38
	v_fmac_f32_e32 v8, 0xbf5db3d7, v33
	v_fmac_f32_e32 v9, 0x3f5db3d7, v34
	;; [unrolled: 1-line block ×4, first 2 shown]
	s_waitcnt lgkmcnt(0)
	s_barrier
	ds_write2_b64 v35, v[26:27], v[8:9] offset1:108
	ds_write_b64 v35, v[18:19] offset:1728
	v_add_f32_e32 v9, v39, v37
	v_add_f32_e32 v18, v36, v40
	v_add_f32_e32 v8, v24, v39
	v_fma_f32 v24, -0.5, v9, v24
	v_add_f32_e32 v9, v25, v36
	v_fmac_f32_e32 v25, -0.5, v18
	v_mul_u32_u24_e32 v18, 0xa20, v42
	v_lshlrev_b32_e32 v19, 3, v44
	v_sub_f32_e32 v26, v36, v40
	v_sub_f32_e32 v27, v39, v37
	v_add3_u32 v33, 0, v18, v19
	v_mov_b32_e32 v18, v24
	v_mov_b32_e32 v19, v25
	v_add_f32_e32 v8, v8, v37
	v_add_f32_e32 v9, v9, v40
	v_fmac_f32_e32 v18, 0xbf5db3d7, v26
	v_fmac_f32_e32 v19, 0x3f5db3d7, v27
	ds_write2_b64 v33, v[8:9], v[18:19] offset1:108
	v_add_f32_e32 v9, v41, v51
	v_add_f32_e32 v18, v50, v28
	v_fmac_f32_e32 v24, 0x3f5db3d7, v26
	v_fmac_f32_e32 v25, 0xbf5db3d7, v27
	v_add_f32_e32 v8, v20, v41
	v_fma_f32 v20, -0.5, v9, v20
	v_add_f32_e32 v9, v21, v50
	v_fmac_f32_e32 v21, -0.5, v18
	v_mul_u32_u24_e32 v18, 0xa20, v45
	v_lshlrev_b32_e32 v19, 3, v46
	ds_write_b64 v33, v[24:25] offset:1728
	v_sub_f32_e32 v24, v50, v28
	v_sub_f32_e32 v25, v41, v51
	v_add3_u32 v26, 0, v18, v19
	v_mov_b32_e32 v18, v20
	v_mov_b32_e32 v19, v21
	v_add_f32_e32 v8, v8, v51
	v_add_f32_e32 v9, v9, v28
	v_fmac_f32_e32 v18, 0xbf5db3d7, v24
	v_fmac_f32_e32 v19, 0x3f5db3d7, v25
	ds_write2_b64 v26, v[8:9], v[18:19] offset1:108
	v_add_f32_e32 v9, v29, v31
	v_add_f32_e32 v18, v30, v32
	v_fmac_f32_e32 v20, 0x3f5db3d7, v24
	v_fmac_f32_e32 v21, 0xbf5db3d7, v25
	v_add_f32_e32 v8, v22, v29
	v_fma_f32 v22, -0.5, v9, v22
	v_add_f32_e32 v9, v23, v30
	v_fmac_f32_e32 v23, -0.5, v18
	v_mul_u32_u24_e32 v18, 0xa20, v47
	v_lshlrev_b32_e32 v19, 3, v48
	ds_write_b64 v26, v[20:21] offset:1728
	v_sub_f32_e32 v20, v30, v32
	v_sub_f32_e32 v21, v29, v31
	v_add3_u32 v24, 0, v18, v19
	v_mov_b32_e32 v18, v22
	v_mov_b32_e32 v19, v23
	v_add_f32_e32 v8, v8, v31
	v_add_f32_e32 v9, v9, v32
	v_fmac_f32_e32 v18, 0xbf5db3d7, v20
	v_fmac_f32_e32 v19, 0x3f5db3d7, v21
	ds_write2_b64 v24, v[8:9], v[18:19] offset1:108
	v_lshlrev_b32_e32 v8, 1, v0
	v_mov_b32_e32 v9, 0
	v_lshlrev_b64 v[18:19], 3, v[8:9]
	v_mov_b32_e32 v44, s9
	v_add_co_u32_e32 v42, vcc, s8, v18
	v_addc_co_u32_e32 v43, vcc, v44, v19, vcc
	v_add_u32_e32 v8, 0xffffffaf, v0
	v_cmp_gt_u32_e32 vcc, s4, v0
	v_cndmask_b32_e32 v45, v8, v4, vcc
	v_fmac_f32_e32 v22, 0x3f5db3d7, v20
	v_fmac_f32_e32 v23, 0xbf5db3d7, v21
	v_lshlrev_b32_e32 v8, 1, v45
	ds_write_b64 v24, v[22:23] offset:1728
	v_lshlrev_b64 v[22:23], 3, v[8:9]
	s_waitcnt lgkmcnt(0)
	s_barrier
	global_load_dwordx4 v[18:21], v[42:43], off offset:2544
	v_add_co_u32_e32 v22, vcc, s8, v22
	v_addc_co_u32_e32 v23, vcc, v44, v23, vcc
	global_load_dwordx4 v[22:25], v[22:23], off offset:2544
	s_movk_i32 s4, 0x6523
	v_mul_u32_u24_sdwa v8, v7, s4 dst_sel:DWORD dst_unused:UNUSED_PAD src0_sel:WORD_0 src1_sel:DWORD
	v_lshrrev_b32_e32 v8, 23, v8
	v_mul_lo_u16_e32 v26, 0x144, v8
	v_sub_u16_e32 v46, v7, v26
	v_mul_u32_u24_sdwa v30, v6, s4 dst_sel:DWORD dst_unused:UNUSED_PAD src0_sel:WORD_0 src1_sel:DWORD
	v_lshlrev_b32_e32 v26, 4, v46
	v_lshrrev_b32_e32 v30, 23, v30
	global_load_dwordx4 v[26:29], v26, s[8:9] offset:2544
	v_mul_lo_u16_e32 v30, 0x144, v30
	v_sub_u16_e32 v47, v6, v30
	v_lshlrev_b32_e32 v30, 4, v47
	global_load_dwordx4 v[30:33], v30, s[8:9] offset:2544
	ds_read2_b64 v[34:37], v11 offset0:12 offset1:255
	ds_read2_b64 v[38:41], v12 offset0:8 offset1:251
	s_movk_i32 s4, 0x50
	v_cmp_lt_u32_e32 vcc, s4, v0
	v_mul_u32_u24_e32 v8, 0x1e60, v8
	s_movk_i32 s4, 0x1000
	s_waitcnt vmcnt(3) lgkmcnt(1)
	v_mul_f32_e32 v48, v19, v35
	v_mul_f32_e32 v19, v19, v34
	v_fmac_f32_e32 v48, v18, v34
	v_fma_f32 v34, v18, v35, -v19
	s_waitcnt lgkmcnt(0)
	v_mul_f32_e32 v35, v21, v39
	v_mul_f32_e32 v18, v21, v38
	v_fmac_f32_e32 v35, v20, v38
	v_fma_f32 v38, v20, v39, -v18
	s_waitcnt vmcnt(2)
	v_mul_f32_e32 v39, v23, v37
	v_mul_f32_e32 v18, v23, v36
	v_fmac_f32_e32 v39, v22, v36
	v_fma_f32 v36, v22, v37, -v18
	ds_read2_b64 v[18:21], v5 offset0:2 offset1:245
	v_mul_f32_e32 v37, v25, v41
	v_mul_f32_e32 v22, v25, v40
	v_fmac_f32_e32 v37, v24, v40
	v_fma_f32 v40, v24, v41, -v22
	ds_read2_b64 v[22:25], v10 offset0:6 offset1:249
	s_waitcnt vmcnt(1) lgkmcnt(1)
	v_mul_f32_e32 v41, v27, v19
	v_fmac_f32_e32 v41, v26, v18
	v_mul_f32_e32 v18, v27, v18
	v_fma_f32 v49, v26, v19, -v18
	s_waitcnt lgkmcnt(0)
	v_mul_f32_e32 v50, v23, v29
	v_mul_f32_e32 v18, v22, v29
	v_fmac_f32_e32 v50, v22, v28
	v_fma_f32 v28, v23, v28, -v18
	s_waitcnt vmcnt(0)
	v_mul_f32_e32 v29, v21, v31
	v_mul_f32_e32 v18, v20, v31
	v_fmac_f32_e32 v29, v20, v30
	v_fma_f32 v30, v21, v30, -v18
	ds_read_b64 v[18:19], v14
	v_mul_f32_e32 v31, v25, v33
	v_mul_f32_e32 v20, v24, v33
	v_fmac_f32_e32 v31, v24, v32
	v_fma_f32 v32, v25, v32, -v20
	s_waitcnt lgkmcnt(0)
	v_add_f32_e32 v26, v18, v48
	v_add_f32_e32 v27, v19, v34
	v_add_f32_e32 v26, v26, v35
	v_add_f32_e32 v27, v27, v38
	ds_read_b64 v[20:21], v16
	ds_read_b64 v[22:23], v17
	ds_read_b64 v[24:25], v13
	s_waitcnt lgkmcnt(0)
	s_barrier
	ds_write_b64 v14, v[26:27]
	v_add_f32_e32 v26, v48, v35
	v_fma_f32 v18, -0.5, v26, v18
	v_add_f32_e32 v26, v34, v38
	v_fmac_f32_e32 v19, -0.5, v26
	v_sub_f32_e32 v33, v34, v38
	v_sub_f32_e32 v34, v48, v35
	v_mov_b32_e32 v26, v18
	v_mov_b32_e32 v27, v19
	v_fmac_f32_e32 v26, 0xbf5db3d7, v33
	v_fmac_f32_e32 v27, 0x3f5db3d7, v34
	ds_write_b64 v14, v[26:27] offset:2592
	v_fmac_f32_e32 v18, 0x3f5db3d7, v33
	v_fmac_f32_e32 v19, 0xbf5db3d7, v34
	v_mov_b32_e32 v26, 0x1e60
	ds_write_b64 v14, v[18:19] offset:5184
	v_add_f32_e32 v18, v24, v39
	v_add_f32_e32 v19, v25, v36
	v_cndmask_b32_e32 v26, 0, v26, vcc
	v_lshlrev_b32_e32 v27, 3, v45
	v_add_f32_e32 v18, v18, v37
	v_add_f32_e32 v19, v19, v40
	v_add3_u32 v26, 0, v26, v27
	ds_write_b64 v26, v[18:19]
	v_add_f32_e32 v18, v39, v37
	v_fma_f32 v24, -0.5, v18, v24
	v_add_f32_e32 v18, v36, v40
	v_fmac_f32_e32 v25, -0.5, v18
	v_sub_f32_e32 v27, v36, v40
	v_sub_f32_e32 v33, v39, v37
	v_mov_b32_e32 v18, v24
	v_mov_b32_e32 v19, v25
	v_fmac_f32_e32 v18, 0xbf5db3d7, v27
	v_fmac_f32_e32 v19, 0x3f5db3d7, v33
	;; [unrolled: 1-line block ×4, first 2 shown]
	ds_write_b64 v26, v[18:19] offset:2592
	ds_write_b64 v26, v[24:25] offset:5184
	v_add_f32_e32 v18, v20, v41
	v_add_f32_e32 v19, v21, v49
	v_lshlrev_b32_e32 v24, 3, v46
	v_add_f32_e32 v18, v18, v50
	v_add_f32_e32 v19, v19, v28
	v_add3_u32 v8, 0, v8, v24
	ds_write_b64 v8, v[18:19]
	v_add_f32_e32 v18, v41, v50
	v_fma_f32 v20, -0.5, v18, v20
	v_add_f32_e32 v18, v49, v28
	v_fmac_f32_e32 v21, -0.5, v18
	v_sub_f32_e32 v24, v49, v28
	v_sub_f32_e32 v25, v41, v50
	v_mov_b32_e32 v18, v20
	v_mov_b32_e32 v19, v21
	v_fmac_f32_e32 v18, 0xbf5db3d7, v24
	v_fmac_f32_e32 v19, 0x3f5db3d7, v25
	;; [unrolled: 1-line block ×4, first 2 shown]
	ds_write_b64 v8, v[18:19] offset:2592
	ds_write_b64 v8, v[20:21] offset:5184
	v_add_f32_e32 v8, v22, v29
	v_add_f32_e32 v18, v8, v31
	v_add_f32_e32 v8, v23, v30
	v_add_f32_e32 v19, v8, v32
	v_lshl_add_u32 v8, v47, 3, 0
	ds_write_b64 v8, v[18:19] offset:15552
	v_add_f32_e32 v18, v29, v31
	v_fma_f32 v22, -0.5, v18, v22
	v_add_f32_e32 v18, v30, v32
	v_fmac_f32_e32 v23, -0.5, v18
	v_sub_f32_e32 v20, v30, v32
	v_sub_f32_e32 v21, v29, v31
	v_mov_b32_e32 v18, v22
	v_mov_b32_e32 v19, v23
	v_fmac_f32_e32 v18, 0xbf5db3d7, v20
	v_fmac_f32_e32 v19, 0x3f5db3d7, v21
	;; [unrolled: 1-line block ×4, first 2 shown]
	ds_write_b64 v8, v[18:19] offset:18144
	ds_write_b64 v8, v[22:23] offset:20736
	v_lshlrev_b32_e32 v8, 1, v4
	v_add_co_u32_e32 v18, vcc, s4, v42
	v_lshlrev_b64 v[22:23], 3, v[8:9]
	v_addc_co_u32_e32 v19, vcc, 0, v43, vcc
	v_add_co_u32_e32 v8, vcc, s8, v22
	v_addc_co_u32_e32 v23, vcc, v44, v23, vcc
	v_add_co_u32_e32 v22, vcc, s4, v8
	v_lshlrev_b32_e32 v8, 1, v7
	v_lshlrev_b64 v[26:27], 3, v[8:9]
	s_waitcnt lgkmcnt(0)
	s_barrier
	global_load_dwordx4 v[18:21], v[18:19], off offset:3632
	v_addc_co_u32_e32 v23, vcc, 0, v23, vcc
	global_load_dwordx4 v[22:25], v[22:23], off offset:3632
	v_add_co_u32_e32 v8, vcc, s8, v26
	v_addc_co_u32_e32 v27, vcc, v44, v27, vcc
	v_add_co_u32_e32 v26, vcc, s4, v8
	v_lshlrev_b32_e32 v8, 1, v6
	v_lshlrev_b64 v[30:31], 3, v[8:9]
	v_addc_co_u32_e32 v27, vcc, 0, v27, vcc
	v_add_co_u32_e32 v8, vcc, s8, v30
	v_addc_co_u32_e32 v31, vcc, v44, v31, vcc
	global_load_dwordx4 v[26:29], v[26:27], off offset:3632
	v_add_co_u32_e32 v30, vcc, s4, v8
	v_addc_co_u32_e32 v31, vcc, 0, v31, vcc
	global_load_dwordx4 v[30:33], v[30:31], off offset:3632
	ds_read2_b64 v[34:37], v11 offset0:12 offset1:255
	ds_read2_b64 v[38:41], v12 offset0:8 offset1:251
	v_cmp_ne_u32_e32 vcc, 0, v0
	s_waitcnt vmcnt(3) lgkmcnt(1)
	v_mul_f32_e32 v8, v19, v35
	v_mul_f32_e32 v11, v19, v34
	v_fmac_f32_e32 v8, v18, v34
	v_fma_f32 v12, v18, v35, -v11
	s_waitcnt lgkmcnt(0)
	v_mul_f32_e32 v34, v21, v39
	v_mul_f32_e32 v11, v21, v38
	v_fmac_f32_e32 v34, v20, v38
	v_fma_f32 v35, v20, v39, -v11
	s_waitcnt vmcnt(2)
	v_mul_f32_e32 v38, v23, v37
	v_mul_f32_e32 v11, v23, v36
	v_fmac_f32_e32 v38, v22, v36
	v_fma_f32 v36, v22, v37, -v11
	v_mul_f32_e32 v37, v25, v41
	ds_read2_b64 v[18:21], v5 offset0:2 offset1:245
	v_mul_f32_e32 v5, v25, v40
	v_fmac_f32_e32 v37, v24, v40
	v_fma_f32 v5, v24, v41, -v5
	ds_read2_b64 v[22:25], v10 offset0:6 offset1:249
	s_waitcnt vmcnt(1) lgkmcnt(1)
	v_mul_f32_e32 v39, v27, v19
	v_mul_f32_e32 v10, v27, v18
	v_fmac_f32_e32 v39, v26, v18
	v_fma_f32 v26, v26, v19, -v10
	s_waitcnt lgkmcnt(0)
	v_mul_f32_e32 v27, v23, v29
	v_mul_f32_e32 v10, v22, v29
	v_fmac_f32_e32 v27, v22, v28
	v_fma_f32 v28, v23, v28, -v10
	s_waitcnt vmcnt(0)
	v_mul_f32_e32 v29, v21, v31
	v_mul_f32_e32 v10, v20, v31
	v_fmac_f32_e32 v29, v20, v30
	v_fma_f32 v30, v21, v30, -v10
	ds_read_b64 v[10:11], v14
	v_mul_f32_e32 v31, v25, v33
	v_mul_f32_e32 v18, v24, v33
	v_fmac_f32_e32 v31, v24, v32
	v_fma_f32 v32, v25, v32, -v18
	ds_read_b64 v[18:19], v16
	ds_read_b64 v[20:21], v17
	ds_read_b64 v[22:23], v13
	s_waitcnt lgkmcnt(3)
	v_add_f32_e32 v24, v10, v8
	v_add_f32_e32 v25, v11, v12
	;; [unrolled: 1-line block ×4, first 2 shown]
	v_sub_f32_e32 v33, v12, v35
	v_add_f32_e32 v12, v12, v35
	s_waitcnt lgkmcnt(0)
	s_barrier
	ds_write_b64 v14, v[24:25]
	v_add_f32_e32 v24, v8, v34
	v_fmac_f32_e32 v11, -0.5, v12
	v_fma_f32 v10, -0.5, v24, v10
	v_sub_f32_e32 v8, v8, v34
	v_mov_b32_e32 v25, v11
	v_mov_b32_e32 v24, v10
	v_fmac_f32_e32 v25, 0x3f5db3d7, v8
	v_fmac_f32_e32 v10, 0x3f5db3d7, v33
	v_fmac_f32_e32 v11, 0xbf5db3d7, v8
	v_add_f32_e32 v8, v22, v38
	ds_write_b64 v14, v[10:11] offset:15552
	v_add_f32_e32 v10, v8, v37
	v_add_f32_e32 v8, v23, v36
	;; [unrolled: 1-line block ×4, first 2 shown]
	v_fma_f32 v22, -0.5, v8, v22
	v_sub_f32_e32 v8, v36, v5
	v_add_f32_e32 v5, v36, v5
	v_fmac_f32_e32 v24, 0xbf5db3d7, v33
	v_fmac_f32_e32 v23, -0.5, v5
	ds_write_b64 v14, v[24:25] offset:7776
	ds_write_b64 v13, v[10:11]
	v_sub_f32_e32 v5, v38, v37
	v_mov_b32_e32 v10, v22
	v_mov_b32_e32 v11, v23
	v_fmac_f32_e32 v10, 0xbf5db3d7, v8
	v_fmac_f32_e32 v11, 0x3f5db3d7, v5
	v_fmac_f32_e32 v23, 0xbf5db3d7, v5
	v_add_f32_e32 v5, v18, v39
	ds_write_b64 v13, v[10:11] offset:7776
	v_add_f32_e32 v10, v5, v27
	v_add_f32_e32 v5, v19, v26
	v_fmac_f32_e32 v22, 0x3f5db3d7, v8
	v_add_f32_e32 v11, v5, v28
	v_add_f32_e32 v5, v39, v27
	;; [unrolled: 1-line block ×3, first 2 shown]
	v_fma_f32 v18, -0.5, v5, v18
	v_fmac_f32_e32 v19, -0.5, v8
	ds_write_b64 v13, v[22:23] offset:15552
	ds_write_b64 v16, v[10:11]
	v_sub_f32_e32 v5, v26, v28
	v_sub_f32_e32 v8, v39, v27
	v_mov_b32_e32 v10, v18
	v_mov_b32_e32 v11, v19
	v_fmac_f32_e32 v10, 0xbf5db3d7, v5
	v_fmac_f32_e32 v11, 0x3f5db3d7, v8
	;; [unrolled: 1-line block ×3, first 2 shown]
	v_add_f32_e32 v5, v20, v29
	ds_write_b64 v16, v[10:11] offset:7776
	v_add_f32_e32 v10, v5, v31
	v_add_f32_e32 v5, v21, v30
	;; [unrolled: 1-line block ×4, first 2 shown]
	v_fmac_f32_e32 v19, 0xbf5db3d7, v8
	v_fma_f32 v20, -0.5, v5, v20
	ds_write_b64 v16, v[18:19] offset:15552
	ds_write_b64 v17, v[10:11]
	v_sub_f32_e32 v5, v30, v32
	v_mov_b32_e32 v10, v20
	v_fmac_f32_e32 v10, 0xbf5db3d7, v5
	v_fmac_f32_e32 v20, 0x3f5db3d7, v5
	v_add_f32_e32 v5, v30, v32
	v_fmac_f32_e32 v21, -0.5, v5
	v_sub_f32_e32 v5, v29, v31
	v_mov_b32_e32 v11, v21
	v_fmac_f32_e32 v11, 0x3f5db3d7, v5
	v_fmac_f32_e32 v21, 0xbf5db3d7, v5
	ds_write_b64 v17, v[10:11] offset:7776
	ds_write_b64 v17, v[20:21] offset:15552
	s_waitcnt lgkmcnt(0)
	s_barrier
	ds_read_b64 v[12:13], v14
	v_sub_u32_e32 v18, 0, v1
                                        ; implicit-def: $vgpr10
                                        ; implicit-def: $vgpr1
                                        ; implicit-def: $vgpr19
	s_and_saveexec_b64 s[4:5], vcc
	s_xor_b64 s[4:5], exec, s[4:5]
	s_cbranch_execz .LBB0_15
; %bb.14:
	v_mov_b32_e32 v1, v9
	v_lshlrev_b64 v[8:9], 3, v[0:1]
	v_mov_b32_e32 v1, s7
	v_add_co_u32_e32 v8, vcc, s6, v8
	v_addc_co_u32_e32 v9, vcc, v1, v9, vcc
	global_load_dwordx2 v[8:9], v[8:9], off
	ds_read_b64 v[10:11], v18 offset:23328
	s_waitcnt lgkmcnt(0)
	v_add_f32_e32 v5, v10, v12
	v_sub_f32_e32 v10, v12, v10
	v_add_f32_e32 v1, v11, v13
	v_sub_f32_e32 v11, v13, v11
	v_mul_f32_e32 v13, 0.5, v10
	v_mul_f32_e32 v12, 0.5, v1
	;; [unrolled: 1-line block ×3, first 2 shown]
	s_waitcnt vmcnt(0)
	v_mul_f32_e32 v10, v9, v13
	v_fma_f32 v11, v12, v9, v1
	v_fma_f32 v9, v12, v9, -v1
	v_fma_f32 v1, 0.5, v5, v10
	v_fma_f32 v5, v5, 0.5, -v10
	v_fma_f32 v19, -v8, v13, v11
	v_fmac_f32_e32 v1, v8, v12
	v_fma_f32 v10, -v8, v12, v5
	v_fma_f32 v11, -v8, v13, v9
                                        ; implicit-def: $vgpr12_vgpr13
.LBB0_15:
	s_or_saveexec_b64 s[4:5], s[4:5]
	v_mul_i32_i24_e32 v9, 0xffffffd8, v4
	s_xor_b64 exec, exec, s[4:5]
	s_cbranch_execz .LBB0_17
; %bb.16:
	v_mov_b32_e32 v19, 0
	ds_read_b32 v5, v19 offset:11668
	s_waitcnt lgkmcnt(1)
	v_add_f32_e32 v1, v12, v13
	v_sub_f32_e32 v10, v12, v13
	v_mov_b32_e32 v11, 0
	s_waitcnt lgkmcnt(0)
	v_xor_b32_e32 v5, 0x80000000, v5
	ds_write_b32 v19, v5 offset:11668
.LBB0_17:
	s_or_b64 exec, exec, s[4:5]
	v_mov_b32_e32 v5, 0
	s_waitcnt lgkmcnt(0)
	v_lshlrev_b64 v[12:13], 3, v[4:5]
	v_mov_b32_e32 v4, s7
	v_add_co_u32_e32 v12, vcc, s6, v12
	v_addc_co_u32_e32 v13, vcc, v4, v13, vcc
	global_load_dwordx2 v[12:13], v[12:13], off
	v_mov_b32_e32 v8, v5
	v_lshlrev_b64 v[7:8], 3, v[7:8]
	v_add_co_u32_e32 v7, vcc, s6, v7
	v_addc_co_u32_e32 v8, vcc, v4, v8, vcc
	global_load_dwordx2 v[20:21], v[7:8], off
	v_mov_b32_e32 v7, v5
	v_lshlrev_b64 v[6:7], 3, v[6:7]
	v_add_co_u32_e32 v6, vcc, s6, v6
	v_addc_co_u32_e32 v7, vcc, v4, v7, vcc
	global_load_dwordx2 v[6:7], v[6:7], off
	v_add_u32_e32 v4, 0x3cc, v0
	v_lshlrev_b64 v[22:23], 3, v[4:5]
	ds_write2_b32 v14, v1, v19 offset1:1
	ds_write_b64 v18, v[10:11] offset:23328
	v_add_u32_e32 v1, v15, v9
	v_mov_b32_e32 v15, s7
	v_add_co_u32_e32 v22, vcc, s6, v22
	v_addc_co_u32_e32 v23, vcc, v15, v23, vcc
	ds_read_b64 v[8:9], v1
	ds_read_b64 v[10:11], v18 offset:21384
	global_load_dwordx2 v[22:23], v[22:23], off
	v_add_u32_e32 v4, 0x4bf, v0
	v_lshlrev_b64 v[24:25], 3, v[4:5]
	v_mov_b32_e32 v19, s7
	s_waitcnt lgkmcnt(0)
	v_add_f32_e32 v4, v8, v10
	v_sub_f32_e32 v8, v8, v10
	v_add_f32_e32 v15, v9, v11
	v_sub_f32_e32 v9, v9, v11
	v_mul_f32_e32 v8, 0.5, v8
	v_mul_f32_e32 v10, 0.5, v15
	v_mul_f32_e32 v9, 0.5, v9
	s_waitcnt vmcnt(3)
	v_mul_f32_e32 v11, v13, v8
	v_fma_f32 v15, v10, v13, v9
	v_fma_f32 v9, v10, v13, -v9
	v_fma_f32 v13, 0.5, v4, v11
	v_fma_f32 v4, v4, 0.5, -v11
	v_fma_f32 v15, -v12, v8, v15
	v_fma_f32 v8, -v12, v8, v9
	v_fmac_f32_e32 v13, v12, v10
	v_fma_f32 v4, -v12, v10, v4
	v_add_co_u32_e32 v12, vcc, s6, v24
	ds_write_b32 v1, v15 offset:4
	ds_write_b32 v18, v8 offset:21388
	ds_write_b32 v1, v13
	ds_write_b32 v18, v4 offset:21384
	v_addc_co_u32_e32 v13, vcc, v19, v25, vcc
	ds_read_b64 v[8:9], v16
	ds_read_b64 v[10:11], v18 offset:19440
	global_load_dwordx2 v[12:13], v[12:13], off
	s_waitcnt lgkmcnt(0)
	v_add_f32_e32 v1, v8, v10
	v_sub_f32_e32 v8, v8, v10
	v_add_f32_e32 v4, v9, v11
	v_sub_f32_e32 v9, v9, v11
	v_mul_f32_e32 v8, 0.5, v8
	v_mul_f32_e32 v4, 0.5, v4
	;; [unrolled: 1-line block ×3, first 2 shown]
	s_waitcnt vmcnt(3)
	v_mul_f32_e32 v10, v21, v8
	v_fma_f32 v11, v4, v21, v9
	v_fma_f32 v15, 0.5, v1, v10
	v_fma_f32 v9, v4, v21, -v9
	v_fma_f32 v11, -v20, v8, v11
	v_fma_f32 v1, v1, 0.5, -v10
	v_fmac_f32_e32 v15, v20, v4
	v_fma_f32 v9, -v20, v8, v9
	v_fma_f32 v8, -v20, v4, v1
	ds_write2_b32 v16, v15, v11 offset1:1
	ds_write_b64 v18, v[8:9] offset:19440
	ds_read_b64 v[8:9], v17
	ds_read_b64 v[10:11], v18 offset:17496
	s_waitcnt lgkmcnt(0)
	v_add_f32_e32 v1, v8, v10
	v_sub_f32_e32 v8, v8, v10
	v_add_f32_e32 v4, v9, v11
	v_sub_f32_e32 v9, v9, v11
	v_mul_f32_e32 v8, 0.5, v8
	v_mul_f32_e32 v4, 0.5, v4
	;; [unrolled: 1-line block ×3, first 2 shown]
	s_waitcnt vmcnt(2)
	v_mul_f32_e32 v10, v7, v8
	v_fma_f32 v11, v4, v7, v9
	v_fma_f32 v7, v4, v7, -v9
	v_fma_f32 v9, 0.5, v1, v10
	v_fma_f32 v11, -v6, v8, v11
	v_fma_f32 v1, v1, 0.5, -v10
	v_fmac_f32_e32 v9, v6, v4
	v_fma_f32 v7, -v6, v8, v7
	v_fma_f32 v6, -v6, v4, v1
	ds_write2_b32 v17, v9, v11 offset1:1
	ds_write_b64 v18, v[6:7] offset:17496
	ds_read_b64 v[6:7], v14 offset:7776
	ds_read_b64 v[8:9], v18 offset:15552
	s_waitcnt lgkmcnt(0)
	v_add_f32_e32 v1, v6, v8
	v_sub_f32_e32 v6, v6, v8
	v_mul_f32_e32 v8, 0.5, v6
	v_add_f32_e32 v4, v7, v9
	v_sub_f32_e32 v7, v7, v9
	s_waitcnt vmcnt(1)
	v_mul_f32_e32 v6, v23, v8
	v_mul_f32_e32 v4, 0.5, v4
	v_mul_f32_e32 v7, 0.5, v7
	v_fma_f32 v10, 0.5, v1, v6
	v_fma_f32 v1, v1, 0.5, -v6
	v_fma_f32 v9, v4, v23, v7
	v_fma_f32 v6, -v22, v4, v1
	v_fma_f32 v1, v4, v23, -v7
	v_fma_f32 v9, -v22, v8, v9
	v_fmac_f32_e32 v10, v22, v4
	v_fma_f32 v7, -v22, v8, v1
	v_add_u32_e32 v1, 0x1c00, v14
	ds_write2_b32 v1, v10, v9 offset0:152 offset1:153
	ds_write_b64 v18, v[6:7] offset:15552
	ds_read_b64 v[6:7], v14 offset:9720
	ds_read_b64 v[8:9], v18 offset:13608
	s_waitcnt lgkmcnt(0)
	v_add_f32_e32 v1, v6, v8
	v_sub_f32_e32 v6, v6, v8
	v_mul_f32_e32 v8, 0.5, v6
	v_add_f32_e32 v4, v7, v9
	v_sub_f32_e32 v7, v7, v9
	v_mul_f32_e32 v4, 0.5, v4
	v_mul_f32_e32 v7, 0.5, v7
	s_waitcnt vmcnt(0)
	v_mul_f32_e32 v6, v13, v8
	v_fma_f32 v9, 0.5, v1, v6
	v_fma_f32 v1, v1, 0.5, -v6
	v_fma_f32 v10, v4, v13, v7
	v_fma_f32 v6, -v12, v4, v1
	v_fma_f32 v1, v4, v13, -v7
	v_fmac_f32_e32 v9, v12, v4
	v_fma_f32 v10, -v12, v8, v10
	v_fma_f32 v7, -v12, v8, v1
	v_add_u32_e32 v1, 0x2400, v14
	ds_write2_b32 v1, v9, v10 offset0:126 offset1:127
	ds_write_b64 v18, v[6:7] offset:13608
	s_waitcnt lgkmcnt(0)
	s_barrier
	s_and_saveexec_b64 s[4:5], s[0:1]
	s_cbranch_execz .LBB0_20
; %bb.18:
	v_mov_b32_e32 v1, v5
	ds_read2_b64 v[5:8], v14 offset1:243
	v_mov_b32_e32 v9, s3
	v_add_co_u32_e32 v4, vcc, s2, v2
	v_lshlrev_b64 v[15:16], 3, v[0:1]
	v_add_u32_e32 v1, 0xf00, v14
	v_addc_co_u32_e32 v2, vcc, v9, v3, vcc
	ds_read2_b64 v[9:12], v1 offset0:6 offset1:249
	v_add_co_u32_e32 v15, vcc, v4, v15
	v_addc_co_u32_e32 v16, vcc, v2, v16, vcc
	s_waitcnt lgkmcnt(1)
	global_store_dwordx2 v[15:16], v[5:6], off
	global_store_dwordx2 v[15:16], v[7:8], off offset:1944
	s_waitcnt lgkmcnt(0)
	global_store_dwordx2 v[15:16], v[9:10], off offset:3888
	v_add_u32_e32 v1, 0x1e00, v14
	ds_read2_b64 v[5:8], v1 offset0:12 offset1:255
	s_movk_i32 s0, 0x1000
	v_add_co_u32_e32 v9, vcc, s0, v15
	v_addc_co_u32_e32 v10, vcc, 0, v16, vcc
	global_store_dwordx2 v[9:10], v[11:12], off offset:1736
	s_waitcnt lgkmcnt(0)
	global_store_dwordx2 v[9:10], v[5:6], off offset:3680
	v_add_u32_e32 v1, 0x2d80, v14
	ds_read2_b64 v[9:12], v1 offset0:2 offset1:245
	s_movk_i32 s0, 0x2000
	v_add_co_u32_e32 v5, vcc, s0, v15
	v_addc_co_u32_e32 v6, vcc, 0, v16, vcc
	;; [unrolled: 8-line block ×3, first 2 shown]
	global_store_dwordx2 v[9:10], v[11:12], off offset:1320
	s_waitcnt lgkmcnt(0)
	global_store_dwordx2 v[9:10], v[5:6], off offset:3264
	v_add_u32_e32 v1, 0x4bc0, v14
	ds_read2_b64 v[9:12], v1 offset0:6 offset1:249
	v_add_co_u32_e32 v5, vcc, 0x4000, v15
	v_addc_co_u32_e32 v6, vcc, 0, v16, vcc
	global_store_dwordx2 v[5:6], v[7:8], off offset:1112
	s_waitcnt lgkmcnt(0)
	global_store_dwordx2 v[5:6], v[9:10], off offset:3056
	v_add_co_u32_e32 v5, vcc, 0x5000, v15
	v_addc_co_u32_e32 v6, vcc, 0, v16, vcc
	s_movk_i32 s0, 0xf2
	v_cmp_eq_u32_e32 vcc, s0, v0
	global_store_dwordx2 v[5:6], v[11:12], off offset:904
	s_and_b64 exec, exec, vcc
	s_cbranch_execz .LBB0_20
; %bb.19:
	v_mov_b32_e32 v0, 0
	ds_read_b64 v[0:1], v0 offset:23328
	v_add_co_u32_e32 v3, vcc, 0x5000, v4
	v_addc_co_u32_e32 v4, vcc, 0, v2, vcc
	s_waitcnt lgkmcnt(0)
	global_store_dwordx2 v[3:4], v[0:1], off offset:2848
.LBB0_20:
	s_endpgm
	.section	.rodata,"a",@progbits
	.p2align	6, 0x0
	.amdhsa_kernel fft_rtc_back_len2916_factors_6_6_3_3_3_3_wgs_243_tpt_243_halfLds_sp_ip_CI_unitstride_sbrr_R2C_dirReg
		.amdhsa_group_segment_fixed_size 0
		.amdhsa_private_segment_fixed_size 0
		.amdhsa_kernarg_size 88
		.amdhsa_user_sgpr_count 6
		.amdhsa_user_sgpr_private_segment_buffer 1
		.amdhsa_user_sgpr_dispatch_ptr 0
		.amdhsa_user_sgpr_queue_ptr 0
		.amdhsa_user_sgpr_kernarg_segment_ptr 1
		.amdhsa_user_sgpr_dispatch_id 0
		.amdhsa_user_sgpr_flat_scratch_init 0
		.amdhsa_user_sgpr_private_segment_size 0
		.amdhsa_uses_dynamic_stack 0
		.amdhsa_system_sgpr_private_segment_wavefront_offset 0
		.amdhsa_system_sgpr_workgroup_id_x 1
		.amdhsa_system_sgpr_workgroup_id_y 0
		.amdhsa_system_sgpr_workgroup_id_z 0
		.amdhsa_system_sgpr_workgroup_info 0
		.amdhsa_system_vgpr_workitem_id 0
		.amdhsa_next_free_vgpr 55
		.amdhsa_next_free_sgpr 22
		.amdhsa_reserve_vcc 1
		.amdhsa_reserve_flat_scratch 0
		.amdhsa_float_round_mode_32 0
		.amdhsa_float_round_mode_16_64 0
		.amdhsa_float_denorm_mode_32 3
		.amdhsa_float_denorm_mode_16_64 3
		.amdhsa_dx10_clamp 1
		.amdhsa_ieee_mode 1
		.amdhsa_fp16_overflow 0
		.amdhsa_exception_fp_ieee_invalid_op 0
		.amdhsa_exception_fp_denorm_src 0
		.amdhsa_exception_fp_ieee_div_zero 0
		.amdhsa_exception_fp_ieee_overflow 0
		.amdhsa_exception_fp_ieee_underflow 0
		.amdhsa_exception_fp_ieee_inexact 0
		.amdhsa_exception_int_div_zero 0
	.end_amdhsa_kernel
	.text
.Lfunc_end0:
	.size	fft_rtc_back_len2916_factors_6_6_3_3_3_3_wgs_243_tpt_243_halfLds_sp_ip_CI_unitstride_sbrr_R2C_dirReg, .Lfunc_end0-fft_rtc_back_len2916_factors_6_6_3_3_3_3_wgs_243_tpt_243_halfLds_sp_ip_CI_unitstride_sbrr_R2C_dirReg
                                        ; -- End function
	.section	.AMDGPU.csdata,"",@progbits
; Kernel info:
; codeLenInByte = 8416
; NumSgprs: 26
; NumVgprs: 55
; ScratchSize: 0
; MemoryBound: 0
; FloatMode: 240
; IeeeMode: 1
; LDSByteSize: 0 bytes/workgroup (compile time only)
; SGPRBlocks: 3
; VGPRBlocks: 13
; NumSGPRsForWavesPerEU: 26
; NumVGPRsForWavesPerEU: 55
; Occupancy: 4
; WaveLimiterHint : 1
; COMPUTE_PGM_RSRC2:SCRATCH_EN: 0
; COMPUTE_PGM_RSRC2:USER_SGPR: 6
; COMPUTE_PGM_RSRC2:TRAP_HANDLER: 0
; COMPUTE_PGM_RSRC2:TGID_X_EN: 1
; COMPUTE_PGM_RSRC2:TGID_Y_EN: 0
; COMPUTE_PGM_RSRC2:TGID_Z_EN: 0
; COMPUTE_PGM_RSRC2:TIDIG_COMP_CNT: 0
	.type	__hip_cuid_b4df04452551d09b,@object ; @__hip_cuid_b4df04452551d09b
	.section	.bss,"aw",@nobits
	.globl	__hip_cuid_b4df04452551d09b
__hip_cuid_b4df04452551d09b:
	.byte	0                               ; 0x0
	.size	__hip_cuid_b4df04452551d09b, 1

	.ident	"AMD clang version 19.0.0git (https://github.com/RadeonOpenCompute/llvm-project roc-6.4.0 25133 c7fe45cf4b819c5991fe208aaa96edf142730f1d)"
	.section	".note.GNU-stack","",@progbits
	.addrsig
	.addrsig_sym __hip_cuid_b4df04452551d09b
	.amdgpu_metadata
---
amdhsa.kernels:
  - .args:
      - .actual_access:  read_only
        .address_space:  global
        .offset:         0
        .size:           8
        .value_kind:     global_buffer
      - .offset:         8
        .size:           8
        .value_kind:     by_value
      - .actual_access:  read_only
        .address_space:  global
        .offset:         16
        .size:           8
        .value_kind:     global_buffer
      - .actual_access:  read_only
        .address_space:  global
        .offset:         24
        .size:           8
        .value_kind:     global_buffer
      - .offset:         32
        .size:           8
        .value_kind:     by_value
      - .actual_access:  read_only
        .address_space:  global
        .offset:         40
        .size:           8
        .value_kind:     global_buffer
      - .actual_access:  read_only
        .address_space:  global
        .offset:         48
        .size:           8
        .value_kind:     global_buffer
      - .offset:         56
        .size:           4
        .value_kind:     by_value
      - .actual_access:  read_only
        .address_space:  global
        .offset:         64
        .size:           8
        .value_kind:     global_buffer
      - .actual_access:  read_only
        .address_space:  global
        .offset:         72
        .size:           8
        .value_kind:     global_buffer
      - .address_space:  global
        .offset:         80
        .size:           8
        .value_kind:     global_buffer
    .group_segment_fixed_size: 0
    .kernarg_segment_align: 8
    .kernarg_segment_size: 88
    .language:       OpenCL C
    .language_version:
      - 2
      - 0
    .max_flat_workgroup_size: 243
    .name:           fft_rtc_back_len2916_factors_6_6_3_3_3_3_wgs_243_tpt_243_halfLds_sp_ip_CI_unitstride_sbrr_R2C_dirReg
    .private_segment_fixed_size: 0
    .sgpr_count:     26
    .sgpr_spill_count: 0
    .symbol:         fft_rtc_back_len2916_factors_6_6_3_3_3_3_wgs_243_tpt_243_halfLds_sp_ip_CI_unitstride_sbrr_R2C_dirReg.kd
    .uniform_work_group_size: 1
    .uses_dynamic_stack: false
    .vgpr_count:     55
    .vgpr_spill_count: 0
    .wavefront_size: 64
amdhsa.target:   amdgcn-amd-amdhsa--gfx906
amdhsa.version:
  - 1
  - 2
...

	.end_amdgpu_metadata
